;; amdgpu-corpus repo=ROCm/rocFFT kind=compiled arch=gfx1201 opt=O3
	.text
	.amdgcn_target "amdgcn-amd-amdhsa--gfx1201"
	.amdhsa_code_object_version 6
	.protected	fft_rtc_fwd_len420_factors_10_7_6_wgs_60_tpt_60_sp_ip_CI_unitstride_sbrr_C2R_dirReg ; -- Begin function fft_rtc_fwd_len420_factors_10_7_6_wgs_60_tpt_60_sp_ip_CI_unitstride_sbrr_C2R_dirReg
	.globl	fft_rtc_fwd_len420_factors_10_7_6_wgs_60_tpt_60_sp_ip_CI_unitstride_sbrr_C2R_dirReg
	.p2align	8
	.type	fft_rtc_fwd_len420_factors_10_7_6_wgs_60_tpt_60_sp_ip_CI_unitstride_sbrr_C2R_dirReg,@function
fft_rtc_fwd_len420_factors_10_7_6_wgs_60_tpt_60_sp_ip_CI_unitstride_sbrr_C2R_dirReg: ; @fft_rtc_fwd_len420_factors_10_7_6_wgs_60_tpt_60_sp_ip_CI_unitstride_sbrr_C2R_dirReg
; %bb.0:
	s_clause 0x2
	s_load_b128 s[4:7], s[0:1], 0x0
	s_load_b64 s[8:9], s[0:1], 0x50
	s_load_b64 s[10:11], s[0:1], 0x18
	v_mul_u32_u24_e32 v1, 0x445, v0
	v_mov_b32_e32 v3, 0
	s_delay_alu instid0(VALU_DEP_2) | instskip(NEXT) | instid1(VALU_DEP_1)
	v_lshrrev_b32_e32 v1, 16, v1
	v_add_nc_u32_e32 v5, ttmp9, v1
	v_mov_b32_e32 v1, 0
	v_mov_b32_e32 v2, 0
	;; [unrolled: 1-line block ×3, first 2 shown]
	s_wait_kmcnt 0x0
	v_cmp_lt_u64_e64 s2, s[6:7], 2
	s_delay_alu instid0(VALU_DEP_1)
	s_and_b32 vcc_lo, exec_lo, s2
	s_cbranch_vccnz .LBB0_8
; %bb.1:
	s_load_b64 s[2:3], s[0:1], 0x10
	v_mov_b32_e32 v1, 0
	v_mov_b32_e32 v2, 0
	s_add_nc_u64 s[12:13], s[10:11], 8
	s_mov_b64 s[14:15], 1
	s_wait_kmcnt 0x0
	s_add_nc_u64 s[16:17], s[2:3], 8
	s_mov_b32 s3, 0
.LBB0_2:                                ; =>This Inner Loop Header: Depth=1
	s_load_b64 s[18:19], s[16:17], 0x0
                                        ; implicit-def: $vgpr7_vgpr8
	s_mov_b32 s2, exec_lo
	s_wait_kmcnt 0x0
	v_or_b32_e32 v4, s19, v6
	s_delay_alu instid0(VALU_DEP_1)
	v_cmpx_ne_u64_e32 0, v[3:4]
	s_wait_alu 0xfffe
	s_xor_b32 s20, exec_lo, s2
	s_cbranch_execz .LBB0_4
; %bb.3:                                ;   in Loop: Header=BB0_2 Depth=1
	s_cvt_f32_u32 s2, s18
	s_cvt_f32_u32 s21, s19
	s_sub_nc_u64 s[24:25], 0, s[18:19]
	s_wait_alu 0xfffe
	s_delay_alu instid0(SALU_CYCLE_1) | instskip(SKIP_1) | instid1(SALU_CYCLE_2)
	s_fmamk_f32 s2, s21, 0x4f800000, s2
	s_wait_alu 0xfffe
	v_s_rcp_f32 s2, s2
	s_delay_alu instid0(TRANS32_DEP_1) | instskip(SKIP_1) | instid1(SALU_CYCLE_2)
	s_mul_f32 s2, s2, 0x5f7ffffc
	s_wait_alu 0xfffe
	s_mul_f32 s21, s2, 0x2f800000
	s_wait_alu 0xfffe
	s_delay_alu instid0(SALU_CYCLE_2) | instskip(SKIP_1) | instid1(SALU_CYCLE_2)
	s_trunc_f32 s21, s21
	s_wait_alu 0xfffe
	s_fmamk_f32 s2, s21, 0xcf800000, s2
	s_cvt_u32_f32 s23, s21
	s_wait_alu 0xfffe
	s_delay_alu instid0(SALU_CYCLE_1) | instskip(SKIP_1) | instid1(SALU_CYCLE_2)
	s_cvt_u32_f32 s22, s2
	s_wait_alu 0xfffe
	s_mul_u64 s[26:27], s[24:25], s[22:23]
	s_wait_alu 0xfffe
	s_mul_hi_u32 s29, s22, s27
	s_mul_i32 s28, s22, s27
	s_mul_hi_u32 s2, s22, s26
	s_mul_i32 s30, s23, s26
	s_wait_alu 0xfffe
	s_add_nc_u64 s[28:29], s[2:3], s[28:29]
	s_mul_hi_u32 s21, s23, s26
	s_mul_hi_u32 s31, s23, s27
	s_add_co_u32 s2, s28, s30
	s_wait_alu 0xfffe
	s_add_co_ci_u32 s2, s29, s21
	s_mul_i32 s26, s23, s27
	s_add_co_ci_u32 s27, s31, 0
	s_wait_alu 0xfffe
	s_add_nc_u64 s[26:27], s[2:3], s[26:27]
	s_wait_alu 0xfffe
	v_add_co_u32 v4, s2, s22, s26
	s_delay_alu instid0(VALU_DEP_1) | instskip(SKIP_1) | instid1(VALU_DEP_1)
	s_cmp_lg_u32 s2, 0
	s_add_co_ci_u32 s23, s23, s27
	v_readfirstlane_b32 s22, v4
	s_wait_alu 0xfffe
	s_delay_alu instid0(VALU_DEP_1)
	s_mul_u64 s[24:25], s[24:25], s[22:23]
	s_wait_alu 0xfffe
	s_mul_hi_u32 s27, s22, s25
	s_mul_i32 s26, s22, s25
	s_mul_hi_u32 s2, s22, s24
	s_mul_i32 s28, s23, s24
	s_wait_alu 0xfffe
	s_add_nc_u64 s[26:27], s[2:3], s[26:27]
	s_mul_hi_u32 s21, s23, s24
	s_mul_hi_u32 s22, s23, s25
	s_wait_alu 0xfffe
	s_add_co_u32 s2, s26, s28
	s_add_co_ci_u32 s2, s27, s21
	s_mul_i32 s24, s23, s25
	s_add_co_ci_u32 s25, s22, 0
	s_wait_alu 0xfffe
	s_add_nc_u64 s[24:25], s[2:3], s[24:25]
	s_wait_alu 0xfffe
	v_add_co_u32 v4, s2, v4, s24
	s_delay_alu instid0(VALU_DEP_1) | instskip(SKIP_1) | instid1(VALU_DEP_1)
	s_cmp_lg_u32 s2, 0
	s_add_co_ci_u32 s2, s23, s25
	v_mul_hi_u32 v13, v5, v4
	s_wait_alu 0xfffe
	v_mad_co_u64_u32 v[7:8], null, v5, s2, 0
	v_mad_co_u64_u32 v[9:10], null, v6, v4, 0
	;; [unrolled: 1-line block ×3, first 2 shown]
	s_delay_alu instid0(VALU_DEP_3) | instskip(SKIP_1) | instid1(VALU_DEP_4)
	v_add_co_u32 v4, vcc_lo, v13, v7
	s_wait_alu 0xfffd
	v_add_co_ci_u32_e32 v7, vcc_lo, 0, v8, vcc_lo
	s_delay_alu instid0(VALU_DEP_2) | instskip(SKIP_1) | instid1(VALU_DEP_2)
	v_add_co_u32 v4, vcc_lo, v4, v9
	s_wait_alu 0xfffd
	v_add_co_ci_u32_e32 v4, vcc_lo, v7, v10, vcc_lo
	s_wait_alu 0xfffd
	v_add_co_ci_u32_e32 v7, vcc_lo, 0, v12, vcc_lo
	s_delay_alu instid0(VALU_DEP_2) | instskip(SKIP_1) | instid1(VALU_DEP_2)
	v_add_co_u32 v4, vcc_lo, v4, v11
	s_wait_alu 0xfffd
	v_add_co_ci_u32_e32 v9, vcc_lo, 0, v7, vcc_lo
	s_delay_alu instid0(VALU_DEP_2) | instskip(SKIP_1) | instid1(VALU_DEP_3)
	v_mul_lo_u32 v10, s19, v4
	v_mad_co_u64_u32 v[7:8], null, s18, v4, 0
	v_mul_lo_u32 v11, s18, v9
	s_delay_alu instid0(VALU_DEP_2) | instskip(NEXT) | instid1(VALU_DEP_2)
	v_sub_co_u32 v7, vcc_lo, v5, v7
	v_add3_u32 v8, v8, v11, v10
	s_delay_alu instid0(VALU_DEP_1) | instskip(SKIP_1) | instid1(VALU_DEP_1)
	v_sub_nc_u32_e32 v10, v6, v8
	s_wait_alu 0xfffd
	v_subrev_co_ci_u32_e64 v10, s2, s19, v10, vcc_lo
	v_add_co_u32 v11, s2, v4, 2
	s_wait_alu 0xf1ff
	v_add_co_ci_u32_e64 v12, s2, 0, v9, s2
	v_sub_co_u32 v13, s2, v7, s18
	v_sub_co_ci_u32_e32 v8, vcc_lo, v6, v8, vcc_lo
	s_wait_alu 0xf1ff
	v_subrev_co_ci_u32_e64 v10, s2, 0, v10, s2
	s_delay_alu instid0(VALU_DEP_3) | instskip(NEXT) | instid1(VALU_DEP_3)
	v_cmp_le_u32_e32 vcc_lo, s18, v13
	v_cmp_eq_u32_e64 s2, s19, v8
	s_wait_alu 0xfffd
	v_cndmask_b32_e64 v13, 0, -1, vcc_lo
	v_cmp_le_u32_e32 vcc_lo, s19, v10
	s_wait_alu 0xfffd
	v_cndmask_b32_e64 v14, 0, -1, vcc_lo
	v_cmp_le_u32_e32 vcc_lo, s18, v7
	;; [unrolled: 3-line block ×3, first 2 shown]
	s_wait_alu 0xfffd
	v_cndmask_b32_e64 v15, 0, -1, vcc_lo
	v_cmp_eq_u32_e32 vcc_lo, s19, v10
	s_wait_alu 0xf1ff
	s_delay_alu instid0(VALU_DEP_2)
	v_cndmask_b32_e64 v7, v15, v7, s2
	s_wait_alu 0xfffd
	v_cndmask_b32_e32 v10, v14, v13, vcc_lo
	v_add_co_u32 v13, vcc_lo, v4, 1
	s_wait_alu 0xfffd
	v_add_co_ci_u32_e32 v14, vcc_lo, 0, v9, vcc_lo
	s_delay_alu instid0(VALU_DEP_3) | instskip(SKIP_2) | instid1(VALU_DEP_3)
	v_cmp_ne_u32_e32 vcc_lo, 0, v10
	s_wait_alu 0xfffd
	v_cndmask_b32_e32 v10, v13, v11, vcc_lo
	v_cndmask_b32_e32 v8, v14, v12, vcc_lo
	v_cmp_ne_u32_e32 vcc_lo, 0, v7
	s_wait_alu 0xfffd
	s_delay_alu instid0(VALU_DEP_2)
	v_dual_cndmask_b32 v7, v4, v10 :: v_dual_cndmask_b32 v8, v9, v8
.LBB0_4:                                ;   in Loop: Header=BB0_2 Depth=1
	s_wait_alu 0xfffe
	s_and_not1_saveexec_b32 s2, s20
	s_cbranch_execz .LBB0_6
; %bb.5:                                ;   in Loop: Header=BB0_2 Depth=1
	v_cvt_f32_u32_e32 v4, s18
	s_sub_co_i32 s20, 0, s18
	s_delay_alu instid0(VALU_DEP_1) | instskip(NEXT) | instid1(TRANS32_DEP_1)
	v_rcp_iflag_f32_e32 v4, v4
	v_mul_f32_e32 v4, 0x4f7ffffe, v4
	s_delay_alu instid0(VALU_DEP_1) | instskip(SKIP_1) | instid1(VALU_DEP_1)
	v_cvt_u32_f32_e32 v4, v4
	s_wait_alu 0xfffe
	v_mul_lo_u32 v7, s20, v4
	s_delay_alu instid0(VALU_DEP_1) | instskip(NEXT) | instid1(VALU_DEP_1)
	v_mul_hi_u32 v7, v4, v7
	v_add_nc_u32_e32 v4, v4, v7
	s_delay_alu instid0(VALU_DEP_1) | instskip(NEXT) | instid1(VALU_DEP_1)
	v_mul_hi_u32 v4, v5, v4
	v_mul_lo_u32 v7, v4, s18
	v_add_nc_u32_e32 v8, 1, v4
	s_delay_alu instid0(VALU_DEP_2) | instskip(NEXT) | instid1(VALU_DEP_1)
	v_sub_nc_u32_e32 v7, v5, v7
	v_subrev_nc_u32_e32 v9, s18, v7
	v_cmp_le_u32_e32 vcc_lo, s18, v7
	s_wait_alu 0xfffd
	s_delay_alu instid0(VALU_DEP_2) | instskip(NEXT) | instid1(VALU_DEP_1)
	v_dual_cndmask_b32 v7, v7, v9 :: v_dual_cndmask_b32 v4, v4, v8
	v_cmp_le_u32_e32 vcc_lo, s18, v7
	s_delay_alu instid0(VALU_DEP_2) | instskip(SKIP_1) | instid1(VALU_DEP_1)
	v_add_nc_u32_e32 v8, 1, v4
	s_wait_alu 0xfffd
	v_dual_cndmask_b32 v7, v4, v8 :: v_dual_mov_b32 v8, v3
.LBB0_6:                                ;   in Loop: Header=BB0_2 Depth=1
	s_wait_alu 0xfffe
	s_or_b32 exec_lo, exec_lo, s2
	s_load_b64 s[20:21], s[12:13], 0x0
	s_delay_alu instid0(VALU_DEP_1)
	v_mul_lo_u32 v4, v8, s18
	v_mul_lo_u32 v11, v7, s19
	v_mad_co_u64_u32 v[9:10], null, v7, s18, 0
	s_add_nc_u64 s[14:15], s[14:15], 1
	s_add_nc_u64 s[12:13], s[12:13], 8
	s_wait_alu 0xfffe
	v_cmp_ge_u64_e64 s2, s[14:15], s[6:7]
	s_add_nc_u64 s[16:17], s[16:17], 8
	s_delay_alu instid0(VALU_DEP_2) | instskip(NEXT) | instid1(VALU_DEP_3)
	v_add3_u32 v4, v10, v11, v4
	v_sub_co_u32 v5, vcc_lo, v5, v9
	s_wait_alu 0xfffd
	s_delay_alu instid0(VALU_DEP_2) | instskip(SKIP_3) | instid1(VALU_DEP_2)
	v_sub_co_ci_u32_e32 v4, vcc_lo, v6, v4, vcc_lo
	s_and_b32 vcc_lo, exec_lo, s2
	s_wait_kmcnt 0x0
	v_mul_lo_u32 v6, s21, v5
	v_mul_lo_u32 v4, s20, v4
	v_mad_co_u64_u32 v[1:2], null, s20, v5, v[1:2]
	s_delay_alu instid0(VALU_DEP_1)
	v_add3_u32 v2, v6, v2, v4
	s_wait_alu 0xfffe
	s_cbranch_vccnz .LBB0_9
; %bb.7:                                ;   in Loop: Header=BB0_2 Depth=1
	v_dual_mov_b32 v5, v7 :: v_dual_mov_b32 v6, v8
	s_branch .LBB0_2
.LBB0_8:
	v_dual_mov_b32 v8, v6 :: v_dual_mov_b32 v7, v5
.LBB0_9:
	s_lshl_b64 s[2:3], s[6:7], 3
	v_mul_hi_u32 v5, 0x4444445, v0
	s_wait_alu 0xfffe
	s_add_nc_u64 s[2:3], s[10:11], s[2:3]
	s_load_b64 s[2:3], s[2:3], 0x0
	s_load_b64 s[0:1], s[0:1], 0x20
	s_wait_kmcnt 0x0
	v_mul_lo_u32 v3, s2, v8
	v_mul_lo_u32 v4, s3, v7
	v_mad_co_u64_u32 v[1:2], null, s2, v7, v[1:2]
	v_cmp_gt_u64_e32 vcc_lo, s[0:1], v[7:8]
	s_delay_alu instid0(VALU_DEP_2) | instskip(SKIP_1) | instid1(VALU_DEP_2)
	v_add3_u32 v2, v4, v2, v3
	v_mul_u32_u24_e32 v3, 60, v5
	v_lshlrev_b64_e32 v[30:31], 3, v[1:2]
	s_delay_alu instid0(VALU_DEP_2)
	v_sub_nc_u32_e32 v28, v0, v3
	s_and_saveexec_b32 s1, vcc_lo
	s_cbranch_execz .LBB0_13
; %bb.10:
	v_mov_b32_e32 v29, 0
	s_delay_alu instid0(VALU_DEP_3) | instskip(SKIP_2) | instid1(VALU_DEP_3)
	v_add_co_u32 v0, s0, s8, v30
	s_wait_alu 0xf1ff
	v_add_co_ci_u32_e64 v1, s0, s9, v31, s0
	v_lshlrev_b64_e32 v[2:3], 3, v[28:29]
	v_lshl_add_u32 v16, v28, 3, 0
	s_mov_b32 s2, exec_lo
	s_delay_alu instid0(VALU_DEP_1) | instskip(NEXT) | instid1(VALU_DEP_3)
	v_add_nc_u32_e32 v17, 0x400, v16
	v_add_co_u32 v2, s0, v0, v2
	s_wait_alu 0xf1ff
	v_add_co_ci_u32_e64 v3, s0, v1, v3, s0
	s_clause 0x6
	global_load_b64 v[4:5], v[2:3], off
	global_load_b64 v[6:7], v[2:3], off offset:480
	global_load_b64 v[8:9], v[2:3], off offset:960
	;; [unrolled: 1-line block ×6, first 2 shown]
	s_wait_loadcnt 0x5
	ds_store_2addr_b64 v16, v[4:5], v[6:7] offset1:60
	s_wait_loadcnt 0x3
	ds_store_2addr_b64 v16, v[8:9], v[10:11] offset0:120 offset1:180
	s_wait_loadcnt 0x1
	ds_store_2addr_b64 v17, v[12:13], v[14:15] offset0:112 offset1:172
	s_wait_loadcnt 0x0
	ds_store_b64 v16, v[2:3] offset:2880
	v_cmpx_eq_u32_e32 59, v28
	s_cbranch_execz .LBB0_12
; %bb.11:
	global_load_b64 v[0:1], v[0:1], off offset:3360
	v_mov_b32_e32 v28, 59
	s_wait_loadcnt 0x0
	ds_store_b64 v29, v[0:1] offset:3360
.LBB0_12:
	s_wait_alu 0xfffe
	s_or_b32 exec_lo, exec_lo, s2
.LBB0_13:
	s_wait_alu 0xfffe
	s_or_b32 exec_lo, exec_lo, s1
	v_lshlrev_b32_e32 v0, 3, v28
	global_wb scope:SCOPE_SE
	s_wait_dscnt 0x0
	s_barrier_signal -1
	s_barrier_wait -1
	global_inv scope:SCOPE_SE
	v_add_nc_u32_e32 v32, 0, v0
	v_sub_nc_u32_e32 v4, 0, v0
	s_mov_b32 s1, exec_lo
                                        ; implicit-def: $vgpr2_vgpr3
	ds_load_b32 v5, v32
	ds_load_b32 v6, v4 offset:3360
	s_wait_dscnt 0x0
	v_dual_sub_f32 v1, v5, v6 :: v_dual_add_f32 v0, v6, v5
	v_cmpx_ne_u32_e32 0, v28
	s_wait_alu 0xfffe
	s_xor_b32 s1, exec_lo, s1
	s_cbranch_execz .LBB0_15
; %bb.14:
	v_dual_mov_b32 v29, 0 :: v_dual_sub_f32 v8, v5, v6
	s_delay_alu instid0(VALU_DEP_1) | instskip(NEXT) | instid1(VALU_DEP_1)
	v_lshlrev_b64_e32 v[0:1], 3, v[28:29]
	v_add_co_u32 v0, s0, s4, v0
	s_wait_alu 0xf1ff
	s_delay_alu instid0(VALU_DEP_2)
	v_add_co_ci_u32_e64 v1, s0, s5, v1, s0
	global_load_b64 v[2:3], v[0:1], off offset:3280
	ds_load_b32 v0, v4 offset:3364
	ds_load_b32 v1, v32 offset:4
	v_add_f32_e32 v7, v6, v5
	s_wait_dscnt 0x0
	v_dual_add_f32 v9, v0, v1 :: v_dual_sub_f32 v0, v1, v0
	s_wait_loadcnt 0x0
	s_delay_alu instid0(VALU_DEP_2) | instskip(NEXT) | instid1(VALU_DEP_2)
	v_fma_f32 v5, -v8, v3, v7
	v_fma_f32 v6, v9, v3, -v0
	v_fma_f32 v10, v8, v3, v7
	v_fma_f32 v1, v9, v3, v0
	s_delay_alu instid0(VALU_DEP_3) | instskip(NEXT) | instid1(VALU_DEP_3)
	v_dual_fmac_f32 v5, v2, v9 :: v_dual_fmac_f32 v6, v8, v2
	v_fma_f32 v0, -v2, v9, v10
	s_delay_alu instid0(VALU_DEP_3)
	v_fmac_f32_e32 v1, v8, v2
	v_dual_mov_b32 v2, v28 :: v_dual_mov_b32 v3, v29
	ds_store_b64 v4, v[5:6] offset:3360
.LBB0_15:
	s_wait_alu 0xfffe
	s_and_not1_saveexec_b32 s0, s1
	s_cbranch_execz .LBB0_17
; %bb.16:
	v_mov_b32_e32 v7, 0
	ds_load_b64 v[2:3], v7 offset:1680
	s_wait_dscnt 0x0
	v_dual_mul_f32 v6, -2.0, v3 :: v_dual_add_f32 v5, v2, v2
	v_mov_b32_e32 v2, 0
	v_mov_b32_e32 v3, 0
	ds_store_b64 v7, v[5:6] offset:1680
.LBB0_17:
	s_wait_alu 0xfffe
	s_or_b32 exec_lo, exec_lo, s0
	v_lshlrev_b64_e32 v[2:3], 3, v[2:3]
	s_add_nc_u64 s[0:1], s[4:5], 0xcd0
	s_wait_alu 0xfffe
	s_delay_alu instid0(VALU_DEP_1) | instskip(SKIP_1) | instid1(VALU_DEP_2)
	v_add_co_u32 v2, s0, s0, v2
	s_wait_alu 0xf1ff
	v_add_co_ci_u32_e64 v3, s0, s1, v3, s0
	s_mov_b32 s1, exec_lo
	s_clause 0x1
	global_load_b64 v[5:6], v[2:3], off offset:480
	global_load_b64 v[7:8], v[2:3], off offset:960
	ds_store_b64 v32, v[0:1]
	ds_load_b64 v[0:1], v32 offset:480
	ds_load_b64 v[9:10], v4 offset:2880
	s_wait_dscnt 0x0
	v_add_f32_e32 v11, v0, v9
	v_add_f32_e32 v12, v10, v1
	v_dual_sub_f32 v13, v0, v9 :: v_dual_sub_f32 v0, v1, v10
	s_wait_loadcnt 0x1
	s_delay_alu instid0(VALU_DEP_1) | instskip(NEXT) | instid1(VALU_DEP_2)
	v_fma_f32 v14, v13, v6, v11
	v_fma_f32 v1, v12, v6, v0
	v_fma_f32 v9, -v13, v6, v11
	v_fma_f32 v10, v12, v6, -v0
	s_delay_alu instid0(VALU_DEP_4) | instskip(NEXT) | instid1(VALU_DEP_4)
	v_fma_f32 v0, -v5, v12, v14
	v_fmac_f32_e32 v1, v13, v5
	s_delay_alu instid0(VALU_DEP_4) | instskip(NEXT) | instid1(VALU_DEP_4)
	v_fmac_f32_e32 v9, v5, v12
	v_fmac_f32_e32 v10, v13, v5
	ds_store_b64 v32, v[0:1] offset:480
	ds_store_b64 v4, v[9:10] offset:2880
	ds_load_b64 v[0:1], v32 offset:960
	ds_load_b64 v[5:6], v4 offset:2400
	s_wait_dscnt 0x0
	v_add_f32_e32 v10, v6, v1
	v_add_f32_e32 v9, v0, v5
	v_dual_sub_f32 v11, v0, v5 :: v_dual_sub_f32 v0, v1, v6
	s_wait_loadcnt 0x0
	s_delay_alu instid0(VALU_DEP_1) | instskip(NEXT) | instid1(VALU_DEP_2)
	v_fma_f32 v12, v11, v8, v9
	v_fma_f32 v1, v10, v8, v0
	v_fma_f32 v5, -v11, v8, v9
	v_fma_f32 v6, v10, v8, -v0
	s_delay_alu instid0(VALU_DEP_4) | instskip(NEXT) | instid1(VALU_DEP_4)
	v_fma_f32 v0, -v7, v10, v12
	v_fmac_f32_e32 v1, v11, v7
	s_delay_alu instid0(VALU_DEP_4) | instskip(NEXT) | instid1(VALU_DEP_4)
	v_fmac_f32_e32 v5, v7, v10
	v_fmac_f32_e32 v6, v11, v7
	ds_store_b64 v32, v[0:1] offset:960
	ds_store_b64 v4, v[5:6] offset:2400
	v_cmpx_gt_u32_e32 30, v28
	s_cbranch_execz .LBB0_19
; %bb.18:
	global_load_b64 v[0:1], v[2:3], off offset:1440
	ds_load_b64 v[2:3], v32 offset:1440
	ds_load_b64 v[5:6], v4 offset:1920
	s_wait_dscnt 0x0
	v_dual_add_f32 v8, v6, v3 :: v_dual_sub_f32 v3, v3, v6
	v_sub_f32_e32 v9, v2, v5
	v_add_f32_e32 v7, v2, v5
	s_wait_loadcnt 0x0
	s_delay_alu instid0(VALU_DEP_3) | instskip(SKIP_1) | instid1(VALU_DEP_2)
	v_fma_f32 v2, v8, v1, v3
	v_fma_f32 v6, v8, v1, -v3
	v_fmac_f32_e32 v2, v9, v0
	v_fma_f32 v10, v9, v1, v7
	v_fma_f32 v5, -v9, v1, v7
	s_delay_alu instid0(VALU_DEP_4) | instskip(NEXT) | instid1(VALU_DEP_3)
	v_fmac_f32_e32 v6, v9, v0
	v_fma_f32 v1, -v0, v8, v10
	s_delay_alu instid0(VALU_DEP_3)
	v_fmac_f32_e32 v5, v0, v8
	ds_store_b64 v32, v[1:2] offset:1440
	ds_store_b64 v4, v[5:6] offset:1920
.LBB0_19:
	s_wait_alu 0xfffe
	s_or_b32 exec_lo, exec_lo, s1
	global_wb scope:SCOPE_SE
	s_wait_dscnt 0x0
	s_barrier_signal -1
	s_barrier_wait -1
	global_inv scope:SCOPE_SE
	global_wb scope:SCOPE_SE
	s_barrier_signal -1
	s_barrier_wait -1
	global_inv scope:SCOPE_SE
	ds_load_2addr_b64 v[12:15], v32 offset0:84 offset1:126
	v_add_nc_u32_e32 v0, 0x400, v32
	v_add_nc_u32_e32 v29, 0x800, v32
	ds_load_2addr_b64 v[20:23], v32 offset0:168 offset1:210
	ds_load_2addr_b64 v[16:19], v0 offset0:124 offset1:166
	;; [unrolled: 1-line block ×3, first 2 shown]
	ds_load_2addr_b64 v[24:27], v32 offset1:42
	s_mov_b32 s1, exec_lo
	global_wb scope:SCOPE_SE
	s_wait_dscnt 0x0
	s_barrier_signal -1
	s_barrier_wait -1
	global_inv scope:SCOPE_SE
	v_sub_f32_e32 v4, v13, v21
	v_dual_sub_f32 v2, v12, v20 :: v_dual_sub_f32 v37, v9, v17
	v_dual_add_f32 v1, v20, v16 :: v_dual_add_f32 v36, v21, v17
	v_sub_f32_e32 v5, v8, v16
	v_add_f32_e32 v6, v12, v8
	v_dual_sub_f32 v3, v20, v12 :: v_dual_sub_f32 v42, v21, v17
	s_delay_alu instid0(VALU_DEP_4) | instskip(SKIP_1) | instid1(VALU_DEP_4)
	v_fma_f32 v35, -0.5, v1, v24
	v_sub_f32_e32 v41, v13, v9
	v_fma_f32 v1, -0.5, v6, v24
	v_dual_sub_f32 v7, v16, v8 :: v_dual_add_f32 v6, v13, v9
	s_delay_alu instid0(VALU_DEP_3) | instskip(NEXT) | instid1(VALU_DEP_3)
	v_dual_sub_f32 v44, v12, v8 :: v_dual_fmamk_f32 v33, v41, 0xbf737871, v35
	v_dual_fmamk_f32 v34, v42, 0xbf737871, v1 :: v_dual_sub_f32 v43, v20, v16
	s_delay_alu instid0(VALU_DEP_3) | instskip(SKIP_2) | instid1(VALU_DEP_4)
	v_dual_add_f32 v39, v2, v5 :: v_dual_add_f32 v2, v3, v7
	v_fma_f32 v40, -0.5, v36, v25
	v_fmac_f32_e32 v1, 0x3f737871, v42
	v_fmac_f32_e32 v34, 0x3f167918, v41
	v_add_f32_e32 v45, v4, v37
	v_fma_f32 v37, -0.5, v6, v25
	v_fmamk_f32 v36, v44, 0x3f737871, v40
	v_dual_fmac_f32 v1, 0xbf167918, v41 :: v_dual_add_f32 v4, v22, v18
	v_fmac_f32_e32 v33, 0xbf167918, v42
	s_delay_alu instid0(VALU_DEP_4) | instskip(SKIP_4) | instid1(VALU_DEP_4)
	v_fmamk_f32 v38, v43, 0x3f737871, v37
	v_fmac_f32_e32 v37, 0xbf737871, v43
	v_dual_fmac_f32 v36, 0x3f167918, v43 :: v_dual_sub_f32 v3, v17, v9
	v_fmac_f32_e32 v1, 0x3e9e377a, v2
	v_fma_f32 v46, -0.5, v4, v26
	v_dual_sub_f32 v4, v14, v22 :: v_dual_fmac_f32 v37, 0x3f167918, v44
	v_fmac_f32_e32 v34, 0x3e9e377a, v2
	v_dual_sub_f32 v2, v21, v13 :: v_dual_sub_f32 v5, v10, v18
	v_dual_sub_f32 v6, v22, v14 :: v_dual_sub_f32 v47, v23, v15
	v_sub_f32_e32 v7, v18, v10
	s_delay_alu instid0(VALU_DEP_3) | instskip(SKIP_4) | instid1(VALU_DEP_4)
	v_add_f32_e32 v2, v2, v3
	v_dual_add_f32 v3, v14, v10 :: v_dual_fmac_f32 v38, 0xbf167918, v44
	v_sub_f32_e32 v50, v15, v11
	v_dual_sub_f32 v49, v23, v19 :: v_dual_add_f32 v48, v4, v5
	v_add_f32_e32 v5, v15, v11
	v_fma_f32 v3, -0.5, v3, v26
	v_fmac_f32_e32 v38, 0x3e9e377a, v2
	v_fmac_f32_e32 v37, 0x3e9e377a, v2
	v_fmamk_f32 v2, v50, 0xbf737871, v46
	v_sub_f32_e32 v56, v22, v18
	v_fmamk_f32 v4, v49, 0xbf737871, v3
	v_fma_f32 v5, -0.5, v5, v27
	v_dual_sub_f32 v58, v14, v10 :: v_dual_sub_f32 v51, v19, v11
	v_dual_fmac_f32 v3, 0x3f737871, v49 :: v_dual_add_f32 v6, v6, v7
	v_dual_add_f32 v7, v23, v19 :: v_dual_fmac_f32 v2, 0xbf167918, v49
	s_delay_alu instid0(VALU_DEP_4) | instskip(SKIP_2) | instid1(VALU_DEP_4)
	v_fmamk_f32 v54, v56, 0x3f737871, v5
	v_fmac_f32_e32 v4, 0x3f167918, v50
	v_fmac_f32_e32 v5, 0xbf737871, v56
	v_fma_f32 v57, -0.5, v7, v27
	v_add_f32_e32 v7, v47, v51
	v_sub_f32_e32 v47, v15, v23
	v_dual_sub_f32 v51, v11, v19 :: v_dual_fmac_f32 v54, 0xbf167918, v58
	v_fmac_f32_e32 v3, 0xbf167918, v50
	v_fmac_f32_e32 v4, 0x3e9e377a, v6
	;; [unrolled: 1-line block ×3, first 2 shown]
	s_delay_alu instid0(VALU_DEP_4) | instskip(NEXT) | instid1(VALU_DEP_4)
	v_add_f32_e32 v59, v47, v51
	v_dual_fmac_f32 v54, 0x3e9e377a, v7 :: v_dual_fmac_f32 v3, 0x3e9e377a, v6
	s_delay_alu instid0(VALU_DEP_4) | instskip(NEXT) | instid1(VALU_DEP_4)
	v_mul_f32_e32 v52, 0xbf737871, v4
	v_fmac_f32_e32 v5, 0x3e9e377a, v7
	v_dual_fmac_f32 v33, 0x3e9e377a, v39 :: v_dual_fmac_f32 v36, 0x3e9e377a, v45
	s_delay_alu instid0(VALU_DEP_4) | instskip(SKIP_1) | instid1(VALU_DEP_2)
	v_mul_f32_e32 v47, 0x3f737871, v54
	v_mul_f32_e32 v6, 0x3e9e377a, v3
	v_dual_fmac_f32 v52, 0x3e9e377a, v54 :: v_dual_fmac_f32 v47, 0x3e9e377a, v4
	v_mul_f32_e32 v4, 0x3e9e377a, v5
	s_delay_alu instid0(VALU_DEP_3) | instskip(SKIP_1) | instid1(VALU_DEP_3)
	v_fma_f32 v53, 0x3f737871, v5, -v6
	v_fmamk_f32 v55, v58, 0x3f737871, v57
	v_fma_f32 v54, 0xbf737871, v3, -v4
	s_delay_alu instid0(VALU_DEP_2) | instskip(SKIP_2) | instid1(VALU_DEP_4)
	v_dual_sub_f32 v4, v1, v53 :: v_dual_fmac_f32 v55, 0x3f167918, v56
	v_fmac_f32_e32 v2, 0x3e9e377a, v48
	v_sub_f32_e32 v3, v38, v52
	v_sub_f32_e32 v5, v37, v54
	s_delay_alu instid0(VALU_DEP_4) | instskip(NEXT) | instid1(VALU_DEP_1)
	v_fmac_f32_e32 v55, 0x3e9e377a, v59
	v_dual_mul_f32 v7, 0x3f4f1bbd, v2 :: v_dual_mul_f32 v60, 0x3f4f1bbd, v55
	s_delay_alu instid0(VALU_DEP_1) | instskip(NEXT) | instid1(VALU_DEP_2)
	v_fma_f32 v51, 0x3f167918, v55, -v7
	v_fma_f32 v55, 0xbf167918, v2, -v60
	v_sub_f32_e32 v2, v34, v47
	s_delay_alu instid0(VALU_DEP_3) | instskip(NEXT) | instid1(VALU_DEP_3)
	v_sub_f32_e32 v6, v33, v51
	v_sub_f32_e32 v7, v36, v55
	v_cmpx_gt_u32_e32 42, v28
	s_cbranch_execz .LBB0_21
; %bb.20:
	v_dual_mul_f32 v41, 0x3f737871, v41 :: v_dual_mul_f32 v44, 0x3f737871, v44
	v_dual_mul_f32 v50, 0x3f737871, v50 :: v_dual_add_f32 v13, v25, v13
	v_dual_mul_f32 v42, 0x3f167918, v42 :: v_dual_mul_f32 v43, 0x3f167918, v43
	s_delay_alu instid0(VALU_DEP_2) | instskip(SKIP_3) | instid1(VALU_DEP_3)
	v_dual_mul_f32 v45, 0x3e9e377a, v45 :: v_dual_add_f32 v46, v46, v50
	v_dual_mul_f32 v49, 0x3f167918, v49 :: v_dual_mul_f32 v50, 0x3f167918, v56
	v_dual_sub_f32 v40, v40, v44 :: v_dual_add_f32 v15, v27, v15
	v_add_f32_e32 v12, v24, v12
	v_dual_add_f32 v46, v49, v46 :: v_dual_mul_f32 v49, 0x3e9e377a, v59
	s_delay_alu instid0(VALU_DEP_3) | instskip(SKIP_3) | instid1(VALU_DEP_4)
	v_sub_f32_e32 v40, v40, v43
	v_mul_f32_e32 v58, 0x3f737871, v58
	v_mul_f32_e32 v39, 0x3e9e377a, v39
	v_dual_add_f32 v15, v15, v23 :: v_dual_add_f32 v12, v12, v20
	v_add_f32_e32 v25, v45, v40
	s_delay_alu instid0(VALU_DEP_4) | instskip(SKIP_1) | instid1(VALU_DEP_4)
	v_sub_f32_e32 v44, v57, v58
	v_dual_mul_f32 v48, 0x3e9e377a, v48 :: v_dual_add_f32 v13, v13, v21
	v_dual_add_f32 v14, v26, v14 :: v_dual_add_f32 v15, v15, v19
	s_delay_alu instid0(VALU_DEP_3) | instskip(NEXT) | instid1(VALU_DEP_3)
	v_sub_f32_e32 v43, v44, v50
	v_dual_add_f32 v44, v48, v46 :: v_dual_add_f32 v13, v13, v17
	s_delay_alu instid0(VALU_DEP_3) | instskip(NEXT) | instid1(VALU_DEP_2)
	v_dual_add_f32 v14, v14, v22 :: v_dual_add_f32 v17, v35, v41
	v_dual_add_f32 v40, v49, v43 :: v_dual_mul_f32 v27, 0x3f167918, v44
	s_delay_alu instid0(VALU_DEP_3) | instskip(NEXT) | instid1(VALU_DEP_3)
	v_dual_add_f32 v20, v13, v9 :: v_dual_add_f32 v9, v12, v16
	v_add_f32_e32 v13, v42, v17
	v_add_f32_e32 v17, v38, v52
	s_delay_alu instid0(VALU_DEP_4) | instskip(SKIP_4) | instid1(VALU_DEP_3)
	v_fma_f32 v21, 0x3f4f1bbd, v40, -v27
	v_add_f32_e32 v12, v14, v18
	v_add_f32_e32 v14, v15, v11
	v_dual_add_f32 v8, v9, v8 :: v_dual_add_f32 v23, v39, v13
	v_dual_add_f32 v13, v36, v55 :: v_dual_mul_f32 v22, 0x3f4f1bbd, v44
	v_sub_f32_e32 v11, v20, v14
	v_dual_sub_f32 v9, v25, v21 :: v_dual_add_f32 v12, v12, v10
	s_delay_alu instid0(VALU_DEP_3) | instskip(SKIP_2) | instid1(VALU_DEP_4)
	v_dual_add_f32 v15, v37, v54 :: v_dual_fmac_f32 v22, 0x3f167918, v40
	v_add_f32_e32 v19, v25, v21
	v_dual_add_f32 v21, v20, v14 :: v_dual_add_f32 v14, v1, v53
	v_sub_f32_e32 v10, v8, v12
	s_delay_alu instid0(VALU_DEP_4)
	v_add_f32_e32 v18, v23, v22
	v_add_f32_e32 v20, v8, v12
	v_mad_u32_u24 v1, 0x48, v28, v32
	v_add_f32_e32 v16, v34, v47
	v_add_f32_e32 v12, v33, v51
	v_sub_f32_e32 v8, v23, v22
	ds_store_2addr_b64 v1, v[20:21], v[18:19] offset1:1
	ds_store_2addr_b64 v1, v[16:17], v[14:15] offset0:2 offset1:3
	ds_store_2addr_b64 v1, v[12:13], v[10:11] offset0:4 offset1:5
	;; [unrolled: 1-line block ×4, first 2 shown]
.LBB0_21:
	s_wait_alu 0xfffe
	s_or_b32 exec_lo, exec_lo, s1
	v_and_b32_e32 v1, 0xff, v28
	global_wb scope:SCOPE_SE
	s_wait_dscnt 0x0
	s_barrier_signal -1
	s_barrier_wait -1
	global_inv scope:SCOPE_SE
	v_mul_lo_u16 v1, 0xcd, v1
	v_cmp_gt_u32_e64 s0, 10, v28
	s_delay_alu instid0(VALU_DEP_2) | instskip(NEXT) | instid1(VALU_DEP_1)
	v_lshrrev_b16 v1, 11, v1
	v_mul_lo_u16 v8, v1, 10
	s_delay_alu instid0(VALU_DEP_1) | instskip(NEXT) | instid1(VALU_DEP_1)
	v_sub_nc_u16 v8, v28, v8
	v_and_b32_e32 v37, 0xff, v8
	s_delay_alu instid0(VALU_DEP_1) | instskip(NEXT) | instid1(VALU_DEP_1)
	v_mul_u32_u24_e32 v8, 6, v37
	v_lshlrev_b32_e32 v16, 3, v8
	s_clause 0x2
	global_load_b128 v[8:11], v16, s[4:5]
	global_load_b128 v[12:15], v16, s[4:5] offset:16
	global_load_b128 v[16:19], v16, s[4:5] offset:32
	ds_load_2addr_b64 v[20:23], v32 offset1:60
	ds_load_2addr_b64 v[24:27], v32 offset0:120 offset1:180
	v_and_b32_e32 v38, 0xffff, v1
	ds_load_2addr_b64 v[33:36], v0 offset0:112 offset1:172
	ds_load_b64 v[0:1], v32 offset:2880
	global_wb scope:SCOPE_SE
	s_wait_loadcnt_dscnt 0x0
	s_barrier_signal -1
	s_barrier_wait -1
	global_inv scope:SCOPE_SE
	v_dual_mul_f32 v40, v13, v27 :: v_dual_mul_f32 v43, v19, v1
	v_dual_mul_f32 v42, v17, v36 :: v_dual_lshlrev_b32 v37, 3, v37
	v_mul_f32_e32 v19, v19, v0
	s_delay_alu instid0(VALU_DEP_3)
	v_fma_f32 v0, v18, v0, -v43
	v_mul_f32_e32 v39, v11, v25
	v_mul_f32_e32 v11, v11, v24
	v_mul_u32_u24_e32 v38, 0x230, v38
	v_fmac_f32_e32 v19, v18, v1
	v_fma_f32 v1, v16, v35, -v42
	s_delay_alu instid0(VALU_DEP_4) | instskip(NEXT) | instid1(VALU_DEP_4)
	v_fmac_f32_e32 v11, v10, v25
	v_add3_u32 v37, 0, v38, v37
	v_mul_f32_e32 v38, v9, v23
	v_mul_f32_e32 v9, v9, v22
	s_delay_alu instid0(VALU_DEP_2) | instskip(SKIP_1) | instid1(VALU_DEP_3)
	v_fma_f32 v22, v8, v22, -v38
	v_mul_f32_e32 v13, v13, v26
	v_fmac_f32_e32 v9, v8, v23
	v_fma_f32 v8, v10, v24, -v39
	v_mul_f32_e32 v17, v17, v35
	v_fma_f32 v10, v12, v26, -v40
	s_delay_alu instid0(VALU_DEP_3) | instskip(SKIP_1) | instid1(VALU_DEP_4)
	v_add_f32_e32 v18, v8, v1
	v_fmac_f32_e32 v13, v12, v27
	v_fmac_f32_e32 v17, v16, v36
	v_sub_f32_e32 v1, v8, v1
	s_delay_alu instid0(VALU_DEP_2) | instskip(SKIP_3) | instid1(VALU_DEP_3)
	v_sub_f32_e32 v8, v11, v17
	v_dual_mul_f32 v41, v15, v34 :: v_dual_add_f32 v16, v9, v19
	v_sub_f32_e32 v9, v9, v19
	v_add_f32_e32 v19, v11, v17
	v_fma_f32 v12, v14, v33, -v41
	v_mul_f32_e32 v15, v15, v33
	s_delay_alu instid0(VALU_DEP_2) | instskip(NEXT) | instid1(VALU_DEP_2)
	v_dual_add_f32 v11, v10, v12 :: v_dual_sub_f32 v10, v12, v10
	v_fmac_f32_e32 v15, v14, v34
	v_add_f32_e32 v14, v22, v0
	s_delay_alu instid0(VALU_DEP_2) | instskip(NEXT) | instid1(VALU_DEP_2)
	v_dual_sub_f32 v0, v22, v0 :: v_dual_add_f32 v17, v13, v15
	v_dual_sub_f32 v12, v15, v13 :: v_dual_add_f32 v13, v18, v14
	v_sub_f32_e32 v22, v18, v14
	s_delay_alu instid0(VALU_DEP_2) | instskip(NEXT) | instid1(VALU_DEP_1)
	v_dual_sub_f32 v14, v14, v11 :: v_dual_sub_f32 v27, v12, v8
	v_mul_f32_e32 v14, 0x3f4a47b2, v14
	v_add_f32_e32 v24, v10, v1
	v_sub_f32_e32 v26, v10, v1
	v_dual_sub_f32 v10, v0, v10 :: v_dual_sub_f32 v1, v1, v0
	v_sub_f32_e32 v33, v8, v9
	s_delay_alu instid0(VALU_DEP_4) | instskip(SKIP_2) | instid1(VALU_DEP_1)
	v_add_f32_e32 v0, v24, v0
	v_add_f32_e32 v15, v19, v16
	v_dual_sub_f32 v23, v19, v16 :: v_dual_sub_f32 v16, v16, v17
	v_dual_sub_f32 v19, v17, v19 :: v_dual_mul_f32 v16, 0x3f4a47b2, v16
	s_delay_alu instid0(VALU_DEP_1) | instskip(SKIP_3) | instid1(VALU_DEP_3)
	v_mul_f32_e32 v24, 0x3d64c772, v19
	v_dual_sub_f32 v18, v11, v18 :: v_dual_add_f32 v25, v12, v8
	v_dual_add_f32 v11, v11, v13 :: v_dual_sub_f32 v12, v9, v12
	v_add_f32_e32 v13, v17, v15
	v_dual_mul_f32 v17, 0x3d64c772, v18 :: v_dual_fmamk_f32 v18, v18, 0x3d64c772, v14
	s_delay_alu instid0(VALU_DEP_3)
	v_add_f32_e32 v8, v11, v20
	v_fmamk_f32 v19, v19, 0x3d64c772, v16
	v_add_f32_e32 v15, v25, v9
	v_dual_mul_f32 v25, 0xbf08b237, v26 :: v_dual_mul_f32 v26, 0xbf08b237, v27
	v_fma_f32 v17, 0x3f3bfb3b, v22, -v17
	v_fma_f32 v14, 0xbf3bfb3b, v22, -v14
	s_delay_alu instid0(VALU_DEP_3) | instskip(SKIP_2) | instid1(VALU_DEP_3)
	v_fmamk_f32 v22, v12, 0x3eae86e6, v26
	v_mul_f32_e32 v27, 0x3f5ff5aa, v1
	v_fma_f32 v1, 0x3f5ff5aa, v1, -v25
	v_fmac_f32_e32 v22, 0x3ee1c552, v15
	v_mul_f32_e32 v34, 0x3f5ff5aa, v33
	v_fma_f32 v20, 0x3f3bfb3b, v23, -v24
	v_fma_f32 v24, 0xbeae86e6, v10, -v27
	v_add_f32_e32 v9, v13, v21
	v_fmamk_f32 v21, v10, 0x3eae86e6, v25
	v_fmac_f32_e32 v1, 0x3ee1c552, v0
	v_fma_f32 v16, 0xbf3bfb3b, v23, -v16
	v_fmac_f32_e32 v24, 0x3ee1c552, v0
	v_fmamk_f32 v10, v11, 0xbf955555, v8
	v_fmac_f32_e32 v21, 0x3ee1c552, v0
	v_fma_f32 v23, 0x3f5ff5aa, v33, -v26
	v_fma_f32 v25, 0xbeae86e6, v12, -v34
	s_delay_alu instid0(VALU_DEP_4) | instskip(SKIP_2) | instid1(VALU_DEP_3)
	v_add_f32_e32 v0, v18, v10
	v_add_f32_e32 v17, v17, v10
	;; [unrolled: 1-line block ×4, first 2 shown]
	v_dual_sub_f32 v0, v0, v22 :: v_dual_fmamk_f32 v11, v13, 0xbf955555, v9
	s_delay_alu instid0(VALU_DEP_1) | instskip(SKIP_2) | instid1(VALU_DEP_2)
	v_add_f32_e32 v26, v19, v11
	v_fmac_f32_e32 v23, 0x3ee1c552, v15
	v_fmac_f32_e32 v25, 0x3ee1c552, v15
	v_dual_add_f32 v19, v16, v11 :: v_dual_add_f32 v16, v23, v17
	v_add_f32_e32 v20, v20, v11
	s_delay_alu instid0(VALU_DEP_3)
	v_add_f32_e32 v12, v25, v18
	v_sub_f32_e32 v18, v18, v25
	v_sub_f32_e32 v11, v26, v21
	v_dual_sub_f32 v13, v19, v24 :: v_dual_sub_f32 v14, v17, v23
	v_add_f32_e32 v15, v1, v20
	v_sub_f32_e32 v17, v20, v1
	v_add_f32_e32 v19, v24, v19
	v_add_f32_e32 v1, v21, v26
	ds_store_2addr_b64 v37, v[8:9], v[10:11] offset1:10
	ds_store_2addr_b64 v37, v[12:13], v[14:15] offset0:20 offset1:30
	ds_store_2addr_b64 v37, v[16:17], v[18:19] offset0:40 offset1:50
	ds_store_b64 v37, v[0:1] offset:480
	global_wb scope:SCOPE_SE
	s_wait_dscnt 0x0
	s_barrier_signal -1
	s_barrier_wait -1
	global_inv scope:SCOPE_SE
	ds_load_2addr_b64 v[12:15], v32 offset1:70
	ds_load_2addr_b64 v[20:23], v32 offset0:140 offset1:210
	ds_load_2addr_b64 v[16:19], v29 offset0:24 offset1:94
                                        ; implicit-def: $vgpr11
	s_and_saveexec_b32 s1, s0
	s_cbranch_execz .LBB0_23
; %bb.22:
	v_add_nc_u32_e32 v4, 0x400, v32
	v_add_nc_u32_e32 v8, 0x800, v32
	ds_load_2addr_b64 v[0:3], v32 offset0:60 offset1:130
	ds_load_2addr_b64 v[4:7], v4 offset0:72 offset1:142
	;; [unrolled: 1-line block ×3, first 2 shown]
.LBB0_23:
	s_wait_alu 0xfffe
	s_or_b32 exec_lo, exec_lo, s1
	v_mul_u32_u24_e32 v24, 5, v28
	s_delay_alu instid0(VALU_DEP_1)
	v_lshlrev_b32_e32 v24, 3, v24
	s_clause 0x2
	global_load_b128 v[33:36], v24, s[4:5] offset:480
	global_load_b128 v[37:40], v24, s[4:5] offset:496
	global_load_b64 v[25:26], v24, s[4:5] offset:512
	v_add_nc_u32_e32 v24, 0x800, v32
	global_wb scope:SCOPE_SE
	s_wait_loadcnt_dscnt 0x0
	s_barrier_signal -1
	s_barrier_wait -1
	global_inv scope:SCOPE_SE
	v_mul_f32_e32 v29, v34, v14
	v_dual_mul_f32 v27, v34, v15 :: v_dual_mul_f32 v34, v36, v21
	v_dual_mul_f32 v41, v38, v23 :: v_dual_mul_f32 v36, v36, v20
	v_mul_f32_e32 v43, v26, v19
	s_delay_alu instid0(VALU_DEP_4) | instskip(NEXT) | instid1(VALU_DEP_4)
	v_dual_mul_f32 v38, v38, v22 :: v_dual_fmac_f32 v29, v33, v15
	v_fma_f32 v27, v33, v14, -v27
	v_fma_f32 v14, v35, v20, -v34
	v_mul_f32_e32 v42, v40, v17
	v_fma_f32 v15, v37, v22, -v41
	v_mul_f32_e32 v40, v40, v16
	v_fmac_f32_e32 v38, v37, v23
	v_fmac_f32_e32 v36, v35, v21
	v_mul_f32_e32 v26, v26, v18
	v_fma_f32 v16, v39, v16, -v42
	v_add_f32_e32 v23, v27, v15
	s_delay_alu instid0(VALU_DEP_4) | instskip(NEXT) | instid1(VALU_DEP_4)
	v_add_f32_e32 v21, v13, v36
	v_fmac_f32_e32 v26, v25, v19
	v_fmac_f32_e32 v40, v39, v17
	v_fma_f32 v17, v25, v18, -v43
	v_dual_add_f32 v19, v14, v16 :: v_dual_add_f32 v18, v12, v14
	s_delay_alu instid0(VALU_DEP_2)
	v_add_f32_e32 v25, v15, v17
	v_sub_f32_e32 v15, v15, v17
	v_add_f32_e32 v17, v23, v17
	v_sub_f32_e32 v33, v38, v26
	v_dual_add_f32 v35, v38, v26 :: v_dual_sub_f32 v20, v36, v40
	v_dual_fmac_f32 v27, -0.5, v25 :: v_dual_add_f32 v34, v29, v38
	v_add_f32_e32 v22, v36, v40
	v_fma_f32 v36, -0.5, v19, v12
	s_delay_alu instid0(VALU_DEP_4) | instskip(SKIP_1) | instid1(VALU_DEP_3)
	v_dual_sub_f32 v14, v14, v16 :: v_dual_fmac_f32 v29, -0.5, v35
	v_add_f32_e32 v16, v18, v16
	v_dual_add_f32 v18, v21, v40 :: v_dual_fmamk_f32 v21, v20, 0x3f5db3d7, v36
	v_add_f32_e32 v19, v34, v26
	v_fma_f32 v37, -0.5, v22, v13
	s_delay_alu instid0(VALU_DEP_1) | instskip(NEXT) | instid1(VALU_DEP_3)
	v_dual_fmac_f32 v36, 0xbf5db3d7, v20 :: v_dual_fmamk_f32 v23, v14, 0xbf5db3d7, v37
	v_dual_fmamk_f32 v20, v33, 0x3f5db3d7, v27 :: v_dual_add_f32 v13, v18, v19
	v_fmamk_f32 v22, v15, 0xbf5db3d7, v29
	v_fmac_f32_e32 v37, 0x3f5db3d7, v14
	v_fmac_f32_e32 v27, 0xbf5db3d7, v33
	s_delay_alu instid0(VALU_DEP_4) | instskip(SKIP_1) | instid1(VALU_DEP_3)
	v_mul_f32_e32 v33, 0xbf5db3d7, v20
	v_dual_fmac_f32 v29, 0x3f5db3d7, v15 :: v_dual_add_f32 v12, v16, v17
	v_dual_mul_f32 v25, 0x3f5db3d7, v22 :: v_dual_mul_f32 v26, -0.5, v27
	s_delay_alu instid0(VALU_DEP_3) | instskip(NEXT) | instid1(VALU_DEP_2)
	v_dual_sub_f32 v14, v16, v17 :: v_dual_fmac_f32 v33, 0.5, v22
	v_dual_mul_f32 v34, -0.5, v29 :: v_dual_fmac_f32 v25, 0.5, v20
	s_delay_alu instid0(VALU_DEP_3) | instskip(NEXT) | instid1(VALU_DEP_2)
	v_dual_fmac_f32 v26, 0x3f5db3d7, v29 :: v_dual_sub_f32 v15, v18, v19
	v_dual_add_f32 v17, v23, v33 :: v_dual_fmac_f32 v34, 0xbf5db3d7, v27
	s_delay_alu instid0(VALU_DEP_3) | instskip(NEXT) | instid1(VALU_DEP_3)
	v_add_f32_e32 v16, v21, v25
	v_add_f32_e32 v18, v36, v26
	v_sub_f32_e32 v20, v21, v25
	v_sub_f32_e32 v21, v23, v33
	v_add_f32_e32 v19, v37, v34
	v_sub_f32_e32 v22, v36, v26
	v_sub_f32_e32 v23, v37, v34
	ds_store_2addr_b64 v32, v[12:13], v[16:17] offset1:70
	ds_store_2addr_b64 v32, v[18:19], v[14:15] offset0:140 offset1:210
	ds_store_2addr_b64 v24, v[20:21], v[22:23] offset0:24 offset1:94
	s_and_saveexec_b32 s1, s0
	s_cbranch_execz .LBB0_25
; %bb.24:
	v_add_nc_u32_e32 v12, 60, v28
	v_add_nc_u32_e32 v13, -10, v28
	s_delay_alu instid0(VALU_DEP_1) | instskip(SKIP_1) | instid1(VALU_DEP_2)
	v_cndmask_b32_e64 v12, v13, v12, s0
	v_mov_b32_e32 v13, 0
	v_mul_i32_i24_e32 v12, 5, v12
	s_delay_alu instid0(VALU_DEP_1) | instskip(NEXT) | instid1(VALU_DEP_1)
	v_lshlrev_b64_e32 v[12:13], 3, v[12:13]
	v_add_co_u32 v20, s0, s4, v12
	s_wait_alu 0xf1ff
	s_delay_alu instid0(VALU_DEP_2)
	v_add_co_ci_u32_e64 v21, s0, s5, v13, s0
	s_clause 0x2
	global_load_b128 v[12:15], v[20:21], off offset:480
	global_load_b128 v[16:19], v[20:21], off offset:496
	global_load_b64 v[20:21], v[20:21], off offset:512
	s_wait_loadcnt 0x2
	v_dual_mul_f32 v23, v5, v15 :: v_dual_add_nc_u32 v22, 0x400, v32
	s_wait_loadcnt 0x1
	v_mul_f32_e32 v27, v7, v17
	s_wait_loadcnt 0x0
	v_mul_f32_e32 v29, v11, v21
	v_mul_f32_e32 v17, v6, v17
	;; [unrolled: 1-line block ×3, first 2 shown]
	v_dual_mul_f32 v25, v9, v19 :: v_dual_mul_f32 v26, v3, v13
	v_mul_f32_e32 v13, v2, v13
	s_delay_alu instid0(VALU_DEP_4) | instskip(NEXT) | instid1(VALU_DEP_4)
	v_fmac_f32_e32 v17, v7, v16
	v_fmac_f32_e32 v21, v11, v20
	v_mul_f32_e32 v15, v4, v15
	v_fma_f32 v4, v4, v14, -v23
	v_fma_f32 v2, v2, v12, -v26
	v_fmac_f32_e32 v13, v3, v12
	v_mul_f32_e32 v19, v8, v19
	v_fma_f32 v8, v8, v18, -v25
	v_add_f32_e32 v12, v17, v21
	v_fmac_f32_e32 v15, v5, v14
	s_delay_alu instid0(VALU_DEP_1) | instskip(SKIP_4) | instid1(VALU_DEP_3)
	v_dual_sub_f32 v3, v4, v8 :: v_dual_add_f32 v14, v1, v15
	v_fma_f32 v5, v6, v16, -v27
	v_fma_f32 v6, v10, v20, -v29
	v_add_f32_e32 v16, v13, v17
	v_fmac_f32_e32 v19, v9, v18
	v_add_f32_e32 v9, v5, v6
	v_sub_f32_e32 v11, v5, v6
	s_delay_alu instid0(VALU_DEP_3) | instskip(SKIP_1) | instid1(VALU_DEP_2)
	v_add_f32_e32 v7, v15, v19
	v_add_f32_e32 v5, v2, v5
	v_fma_f32 v18, -0.5, v7, v1
	v_fma_f32 v7, -0.5, v9, v2
	;; [unrolled: 1-line block ×3, first 2 shown]
	s_delay_alu instid0(VALU_DEP_3) | instskip(SKIP_1) | instid1(VALU_DEP_3)
	v_dual_add_f32 v5, v5, v6 :: v_dual_fmamk_f32 v6, v3, 0x3f5db3d7, v18
	v_fmac_f32_e32 v18, 0xbf5db3d7, v3
	v_dual_add_f32 v9, v14, v19 :: v_dual_fmamk_f32 v14, v11, 0x3f5db3d7, v2
	v_fmac_f32_e32 v2, 0xbf5db3d7, v11
	v_dual_sub_f32 v10, v17, v21 :: v_dual_add_f32 v17, v4, v8
	v_add_f32_e32 v4, v0, v4
	s_delay_alu instid0(VALU_DEP_2) | instskip(NEXT) | instid1(VALU_DEP_2)
	v_fma_f32 v13, -0.5, v17, v0
	v_add_f32_e32 v4, v4, v8
	s_delay_alu instid0(VALU_DEP_4) | instskip(SKIP_2) | instid1(VALU_DEP_4)
	v_fmamk_f32 v8, v10, 0xbf5db3d7, v7
	v_fmac_f32_e32 v7, 0x3f5db3d7, v10
	v_mul_f32_e32 v10, -0.5, v14
	v_sub_f32_e32 v0, v4, v5
	v_dual_add_f32 v12, v16, v21 :: v_dual_sub_f32 v15, v15, v19
	s_delay_alu instid0(VALU_DEP_3) | instskip(NEXT) | instid1(VALU_DEP_2)
	v_dual_mul_f32 v11, 0xbf5db3d7, v7 :: v_dual_fmac_f32 v10, 0xbf5db3d7, v8
	v_sub_f32_e32 v1, v9, v12
	v_dual_add_f32 v3, v9, v12 :: v_dual_mul_f32 v12, 0x3f5db3d7, v2
	s_delay_alu instid0(VALU_DEP_3) | instskip(SKIP_2) | instid1(VALU_DEP_4)
	v_dual_fmac_f32 v11, 0.5, v2 :: v_dual_add_f32 v2, v4, v5
	v_fmamk_f32 v16, v15, 0xbf5db3d7, v13
	v_fmac_f32_e32 v13, 0x3f5db3d7, v15
	v_dual_mul_f32 v15, -0.5, v8 :: v_dual_fmac_f32 v12, 0.5, v7
	v_sub_f32_e32 v5, v6, v10
	v_sub_f32_e32 v7, v18, v11
	v_add_f32_e32 v9, v6, v10
	s_delay_alu instid0(VALU_DEP_4) | instskip(SKIP_2) | instid1(VALU_DEP_3)
	v_fmac_f32_e32 v15, 0x3f5db3d7, v14
	v_dual_add_f32 v11, v18, v11 :: v_dual_add_f32 v10, v13, v12
	v_sub_f32_e32 v6, v13, v12
	v_add_f32_e32 v8, v16, v15
	v_sub_f32_e32 v4, v16, v15
	ds_store_2addr_b64 v32, v[2:3], v[10:11] offset0:60 offset1:130
	ds_store_2addr_b64 v22, v[8:9], v[0:1] offset0:72 offset1:142
	ds_store_2addr_b64 v24, v[6:7], v[4:5] offset0:84 offset1:154
.LBB0_25:
	s_wait_alu 0xfffe
	s_or_b32 exec_lo, exec_lo, s1
	global_wb scope:SCOPE_SE
	s_wait_dscnt 0x0
	s_barrier_signal -1
	s_barrier_wait -1
	global_inv scope:SCOPE_SE
	s_and_saveexec_b32 s0, vcc_lo
	s_cbranch_execz .LBB0_27
; %bb.26:
	v_dual_mov_b32 v29, 0 :: v_dual_add_nc_u32 v4, 60, v28
	v_add_co_u32 v30, vcc_lo, s8, v30
	s_wait_alu 0xfffd
	v_add_co_ci_u32_e32 v31, vcc_lo, s9, v31, vcc_lo
	s_delay_alu instid0(VALU_DEP_3) | instskip(SKIP_2) | instid1(VALU_DEP_3)
	v_dual_mov_b32 v5, v29 :: v_dual_add_nc_u32 v8, 0x78, v28
	v_lshlrev_b64_e32 v[6:7], 3, v[28:29]
	v_dual_mov_b32 v9, v29 :: v_dual_add_nc_u32 v10, 0xb4, v28
	v_lshlrev_b64_e32 v[4:5], 3, v[4:5]
	v_mov_b32_e32 v11, v29
	v_lshl_add_u32 v24, v28, 3, 0
	v_add_co_u32 v12, vcc_lo, v30, v6
	v_lshlrev_b64_e32 v[8:9], 3, v[8:9]
	s_wait_alu 0xfffd
	v_add_co_ci_u32_e32 v13, vcc_lo, v31, v7, vcc_lo
	v_add_co_u32 v14, vcc_lo, v30, v4
	s_wait_alu 0xfffd
	v_add_co_ci_u32_e32 v15, vcc_lo, v31, v5, vcc_lo
	v_add_co_u32 v16, vcc_lo, v30, v8
	s_wait_alu 0xfffd
	v_add_co_ci_u32_e32 v17, vcc_lo, v31, v9, vcc_lo
	v_lshlrev_b64_e32 v[8:9], 3, v[10:11]
	v_add_nc_u32_e32 v10, 0xf0, v28
	v_add_nc_u32_e32 v25, 0x400, v24
	ds_load_2addr_b64 v[0:3], v24 offset1:60
	ds_load_2addr_b64 v[4:7], v24 offset0:120 offset1:180
	v_dual_mov_b32 v19, v29 :: v_dual_add_nc_u32 v18, 0x12c, v28
	v_add_co_u32 v20, vcc_lo, v30, v8
	s_wait_alu 0xfffd
	v_add_co_ci_u32_e32 v21, vcc_lo, v31, v9, vcc_lo
	v_lshlrev_b64_e32 v[22:23], 3, v[10:11]
	ds_load_2addr_b64 v[8:11], v25 offset0:112 offset1:172
	ds_load_b64 v[24:25], v24 offset:2880
	v_add_nc_u32_e32 v28, 0x168, v28
	v_lshlrev_b64_e32 v[18:19], 3, v[18:19]
	v_add_co_u32 v22, vcc_lo, v30, v22
	s_delay_alu instid0(VALU_DEP_3) | instskip(SKIP_2) | instid1(VALU_DEP_4)
	v_lshlrev_b64_e32 v[26:27], 3, v[28:29]
	s_wait_alu 0xfffd
	v_add_co_ci_u32_e32 v23, vcc_lo, v31, v23, vcc_lo
	v_add_co_u32 v18, vcc_lo, v30, v18
	s_wait_alu 0xfffd
	v_add_co_ci_u32_e32 v19, vcc_lo, v31, v19, vcc_lo
	v_add_co_u32 v26, vcc_lo, v30, v26
	s_wait_alu 0xfffd
	v_add_co_ci_u32_e32 v27, vcc_lo, v31, v27, vcc_lo
	s_wait_dscnt 0x3
	s_clause 0x1
	global_store_b64 v[12:13], v[0:1], off
	global_store_b64 v[14:15], v[2:3], off
	s_wait_dscnt 0x2
	s_clause 0x1
	global_store_b64 v[16:17], v[4:5], off
	global_store_b64 v[20:21], v[6:7], off
	;; [unrolled: 4-line block ×3, first 2 shown]
	s_wait_dscnt 0x0
	global_store_b64 v[26:27], v[24:25], off
.LBB0_27:
	s_nop 0
	s_sendmsg sendmsg(MSG_DEALLOC_VGPRS)
	s_endpgm
	.section	.rodata,"a",@progbits
	.p2align	6, 0x0
	.amdhsa_kernel fft_rtc_fwd_len420_factors_10_7_6_wgs_60_tpt_60_sp_ip_CI_unitstride_sbrr_C2R_dirReg
		.amdhsa_group_segment_fixed_size 0
		.amdhsa_private_segment_fixed_size 0
		.amdhsa_kernarg_size 88
		.amdhsa_user_sgpr_count 2
		.amdhsa_user_sgpr_dispatch_ptr 0
		.amdhsa_user_sgpr_queue_ptr 0
		.amdhsa_user_sgpr_kernarg_segment_ptr 1
		.amdhsa_user_sgpr_dispatch_id 0
		.amdhsa_user_sgpr_private_segment_size 0
		.amdhsa_wavefront_size32 1
		.amdhsa_uses_dynamic_stack 0
		.amdhsa_enable_private_segment 0
		.amdhsa_system_sgpr_workgroup_id_x 1
		.amdhsa_system_sgpr_workgroup_id_y 0
		.amdhsa_system_sgpr_workgroup_id_z 0
		.amdhsa_system_sgpr_workgroup_info 0
		.amdhsa_system_vgpr_workitem_id 0
		.amdhsa_next_free_vgpr 61
		.amdhsa_next_free_sgpr 32
		.amdhsa_reserve_vcc 1
		.amdhsa_float_round_mode_32 0
		.amdhsa_float_round_mode_16_64 0
		.amdhsa_float_denorm_mode_32 3
		.amdhsa_float_denorm_mode_16_64 3
		.amdhsa_fp16_overflow 0
		.amdhsa_workgroup_processor_mode 1
		.amdhsa_memory_ordered 1
		.amdhsa_forward_progress 0
		.amdhsa_round_robin_scheduling 0
		.amdhsa_exception_fp_ieee_invalid_op 0
		.amdhsa_exception_fp_denorm_src 0
		.amdhsa_exception_fp_ieee_div_zero 0
		.amdhsa_exception_fp_ieee_overflow 0
		.amdhsa_exception_fp_ieee_underflow 0
		.amdhsa_exception_fp_ieee_inexact 0
		.amdhsa_exception_int_div_zero 0
	.end_amdhsa_kernel
	.text
.Lfunc_end0:
	.size	fft_rtc_fwd_len420_factors_10_7_6_wgs_60_tpt_60_sp_ip_CI_unitstride_sbrr_C2R_dirReg, .Lfunc_end0-fft_rtc_fwd_len420_factors_10_7_6_wgs_60_tpt_60_sp_ip_CI_unitstride_sbrr_C2R_dirReg
                                        ; -- End function
	.section	.AMDGPU.csdata,"",@progbits
; Kernel info:
; codeLenInByte = 6104
; NumSgprs: 34
; NumVgprs: 61
; ScratchSize: 0
; MemoryBound: 0
; FloatMode: 240
; IeeeMode: 1
; LDSByteSize: 0 bytes/workgroup (compile time only)
; SGPRBlocks: 4
; VGPRBlocks: 7
; NumSGPRsForWavesPerEU: 34
; NumVGPRsForWavesPerEU: 61
; Occupancy: 16
; WaveLimiterHint : 1
; COMPUTE_PGM_RSRC2:SCRATCH_EN: 0
; COMPUTE_PGM_RSRC2:USER_SGPR: 2
; COMPUTE_PGM_RSRC2:TRAP_HANDLER: 0
; COMPUTE_PGM_RSRC2:TGID_X_EN: 1
; COMPUTE_PGM_RSRC2:TGID_Y_EN: 0
; COMPUTE_PGM_RSRC2:TGID_Z_EN: 0
; COMPUTE_PGM_RSRC2:TIDIG_COMP_CNT: 0
	.text
	.p2alignl 7, 3214868480
	.fill 96, 4, 3214868480
	.type	__hip_cuid_762abce54c63a0f5,@object ; @__hip_cuid_762abce54c63a0f5
	.section	.bss,"aw",@nobits
	.globl	__hip_cuid_762abce54c63a0f5
__hip_cuid_762abce54c63a0f5:
	.byte	0                               ; 0x0
	.size	__hip_cuid_762abce54c63a0f5, 1

	.ident	"AMD clang version 19.0.0git (https://github.com/RadeonOpenCompute/llvm-project roc-6.4.0 25133 c7fe45cf4b819c5991fe208aaa96edf142730f1d)"
	.section	".note.GNU-stack","",@progbits
	.addrsig
	.addrsig_sym __hip_cuid_762abce54c63a0f5
	.amdgpu_metadata
---
amdhsa.kernels:
  - .args:
      - .actual_access:  read_only
        .address_space:  global
        .offset:         0
        .size:           8
        .value_kind:     global_buffer
      - .offset:         8
        .size:           8
        .value_kind:     by_value
      - .actual_access:  read_only
        .address_space:  global
        .offset:         16
        .size:           8
        .value_kind:     global_buffer
      - .actual_access:  read_only
        .address_space:  global
        .offset:         24
        .size:           8
        .value_kind:     global_buffer
      - .offset:         32
        .size:           8
        .value_kind:     by_value
      - .actual_access:  read_only
        .address_space:  global
        .offset:         40
        .size:           8
        .value_kind:     global_buffer
      - .actual_access:  read_only
        .address_space:  global
        .offset:         48
        .size:           8
        .value_kind:     global_buffer
      - .offset:         56
        .size:           4
        .value_kind:     by_value
      - .actual_access:  read_only
        .address_space:  global
        .offset:         64
        .size:           8
        .value_kind:     global_buffer
      - .actual_access:  read_only
        .address_space:  global
        .offset:         72
        .size:           8
        .value_kind:     global_buffer
      - .address_space:  global
        .offset:         80
        .size:           8
        .value_kind:     global_buffer
    .group_segment_fixed_size: 0
    .kernarg_segment_align: 8
    .kernarg_segment_size: 88
    .language:       OpenCL C
    .language_version:
      - 2
      - 0
    .max_flat_workgroup_size: 60
    .name:           fft_rtc_fwd_len420_factors_10_7_6_wgs_60_tpt_60_sp_ip_CI_unitstride_sbrr_C2R_dirReg
    .private_segment_fixed_size: 0
    .sgpr_count:     34
    .sgpr_spill_count: 0
    .symbol:         fft_rtc_fwd_len420_factors_10_7_6_wgs_60_tpt_60_sp_ip_CI_unitstride_sbrr_C2R_dirReg.kd
    .uniform_work_group_size: 1
    .uses_dynamic_stack: false
    .vgpr_count:     61
    .vgpr_spill_count: 0
    .wavefront_size: 32
    .workgroup_processor_mode: 1
amdhsa.target:   amdgcn-amd-amdhsa--gfx1201
amdhsa.version:
  - 1
  - 2
...

	.end_amdgpu_metadata
